;; amdgpu-corpus repo=ROCm/rocFFT kind=compiled arch=gfx1030 opt=O3
	.text
	.amdgcn_target "amdgcn-amd-amdhsa--gfx1030"
	.amdhsa_code_object_version 6
	.protected	fft_rtc_back_len66_factors_6_11_wgs_253_tpt_11_dp_op_CI_CI_unitstride_sbrr_R2C_dirReg ; -- Begin function fft_rtc_back_len66_factors_6_11_wgs_253_tpt_11_dp_op_CI_CI_unitstride_sbrr_R2C_dirReg
	.globl	fft_rtc_back_len66_factors_6_11_wgs_253_tpt_11_dp_op_CI_CI_unitstride_sbrr_R2C_dirReg
	.p2align	8
	.type	fft_rtc_back_len66_factors_6_11_wgs_253_tpt_11_dp_op_CI_CI_unitstride_sbrr_R2C_dirReg,@function
fft_rtc_back_len66_factors_6_11_wgs_253_tpt_11_dp_op_CI_CI_unitstride_sbrr_R2C_dirReg: ; @fft_rtc_back_len66_factors_6_11_wgs_253_tpt_11_dp_op_CI_CI_unitstride_sbrr_R2C_dirReg
; %bb.0:
	s_load_dwordx4 s[12:15], s[4:5], 0x0
	v_mul_u32_u24_e32 v1, 0x1746, v0
	s_clause 0x1
	s_load_dwordx4 s[8:11], s[4:5], 0x58
	s_load_dwordx4 s[16:19], s[4:5], 0x18
	v_mov_b32_e32 v5, 0
	v_lshrrev_b32_e32 v3, 16, v1
	v_mov_b32_e32 v1, 0
	v_mov_b32_e32 v2, 0
	v_mad_u64_u32 v[3:4], null, s6, 23, v[3:4]
	v_mov_b32_e32 v4, v5
	v_mov_b32_e32 v53, v2
	;; [unrolled: 1-line block ×5, first 2 shown]
	s_waitcnt lgkmcnt(0)
	v_cmp_lt_u64_e64 s0, s[14:15], 2
	s_and_b32 vcc_lo, exec_lo, s0
	s_cbranch_vccnz .LBB0_8
; %bb.1:
	s_load_dwordx2 s[0:1], s[4:5], 0x10
	v_mov_b32_e32 v1, 0
	v_mov_b32_e32 v2, 0
	s_add_u32 s2, s18, 8
	v_mov_b32_e32 v8, v4
	s_addc_u32 s3, s19, 0
	v_mov_b32_e32 v7, v3
	v_mov_b32_e32 v53, v2
	s_add_u32 s6, s16, 8
	v_mov_b32_e32 v52, v1
	s_addc_u32 s7, s17, 0
	s_mov_b64 s[22:23], 1
	s_waitcnt lgkmcnt(0)
	s_add_u32 s20, s0, 8
	s_addc_u32 s21, s1, 0
.LBB0_2:                                ; =>This Inner Loop Header: Depth=1
	s_load_dwordx2 s[24:25], s[20:21], 0x0
                                        ; implicit-def: $vgpr54_vgpr55
	s_mov_b32 s0, exec_lo
	s_waitcnt lgkmcnt(0)
	v_or_b32_e32 v6, s25, v8
	v_cmpx_ne_u64_e32 0, v[5:6]
	s_xor_b32 s1, exec_lo, s0
	s_cbranch_execz .LBB0_4
; %bb.3:                                ;   in Loop: Header=BB0_2 Depth=1
	v_cvt_f32_u32_e32 v4, s24
	v_cvt_f32_u32_e32 v6, s25
	s_sub_u32 s0, 0, s24
	s_subb_u32 s26, 0, s25
	v_fmac_f32_e32 v4, 0x4f800000, v6
	v_rcp_f32_e32 v4, v4
	v_mul_f32_e32 v4, 0x5f7ffffc, v4
	v_mul_f32_e32 v6, 0x2f800000, v4
	v_trunc_f32_e32 v6, v6
	v_fmac_f32_e32 v4, 0xcf800000, v6
	v_cvt_u32_f32_e32 v6, v6
	v_cvt_u32_f32_e32 v4, v4
	v_mul_lo_u32 v9, s0, v6
	v_mul_hi_u32 v10, s0, v4
	v_mul_lo_u32 v11, s26, v4
	v_add_nc_u32_e32 v9, v10, v9
	v_mul_lo_u32 v10, s0, v4
	v_add_nc_u32_e32 v9, v9, v11
	v_mul_hi_u32 v11, v4, v10
	v_mul_lo_u32 v12, v4, v9
	v_mul_hi_u32 v13, v4, v9
	v_mul_hi_u32 v14, v6, v10
	v_mul_lo_u32 v10, v6, v10
	v_mul_hi_u32 v15, v6, v9
	v_mul_lo_u32 v9, v6, v9
	v_add_co_u32 v11, vcc_lo, v11, v12
	v_add_co_ci_u32_e32 v12, vcc_lo, 0, v13, vcc_lo
	v_add_co_u32 v10, vcc_lo, v11, v10
	v_add_co_ci_u32_e32 v10, vcc_lo, v12, v14, vcc_lo
	v_add_co_ci_u32_e32 v11, vcc_lo, 0, v15, vcc_lo
	v_add_co_u32 v9, vcc_lo, v10, v9
	v_add_co_ci_u32_e32 v10, vcc_lo, 0, v11, vcc_lo
	v_add_co_u32 v4, vcc_lo, v4, v9
	v_add_co_ci_u32_e32 v6, vcc_lo, v6, v10, vcc_lo
	v_mul_hi_u32 v9, s0, v4
	v_mul_lo_u32 v11, s26, v4
	v_mul_lo_u32 v10, s0, v6
	v_add_nc_u32_e32 v9, v9, v10
	v_mul_lo_u32 v10, s0, v4
	v_add_nc_u32_e32 v9, v9, v11
	v_mul_hi_u32 v11, v4, v10
	v_mul_lo_u32 v12, v4, v9
	v_mul_hi_u32 v13, v4, v9
	v_mul_hi_u32 v14, v6, v10
	v_mul_lo_u32 v10, v6, v10
	v_mul_hi_u32 v15, v6, v9
	v_mul_lo_u32 v9, v6, v9
	v_add_co_u32 v11, vcc_lo, v11, v12
	v_add_co_ci_u32_e32 v12, vcc_lo, 0, v13, vcc_lo
	v_add_co_u32 v10, vcc_lo, v11, v10
	v_add_co_ci_u32_e32 v10, vcc_lo, v12, v14, vcc_lo
	v_add_co_ci_u32_e32 v11, vcc_lo, 0, v15, vcc_lo
	v_add_co_u32 v9, vcc_lo, v10, v9
	v_add_co_ci_u32_e32 v10, vcc_lo, 0, v11, vcc_lo
	v_add_co_u32 v4, vcc_lo, v4, v9
	v_add_co_ci_u32_e32 v6, vcc_lo, v6, v10, vcc_lo
	v_mul_hi_u32 v15, v7, v4
	v_mad_u64_u32 v[11:12], null, v8, v4, 0
	v_mad_u64_u32 v[9:10], null, v7, v6, 0
	;; [unrolled: 1-line block ×3, first 2 shown]
	v_add_co_u32 v4, vcc_lo, v15, v9
	v_add_co_ci_u32_e32 v6, vcc_lo, 0, v10, vcc_lo
	v_add_co_u32 v4, vcc_lo, v4, v11
	v_add_co_ci_u32_e32 v4, vcc_lo, v6, v12, vcc_lo
	v_add_co_ci_u32_e32 v6, vcc_lo, 0, v14, vcc_lo
	v_add_co_u32 v4, vcc_lo, v4, v13
	v_add_co_ci_u32_e32 v6, vcc_lo, 0, v6, vcc_lo
	v_mul_lo_u32 v11, s25, v4
	v_mad_u64_u32 v[9:10], null, s24, v4, 0
	v_mul_lo_u32 v12, s24, v6
	v_sub_co_u32 v9, vcc_lo, v7, v9
	v_add3_u32 v10, v10, v12, v11
	v_sub_nc_u32_e32 v11, v8, v10
	v_subrev_co_ci_u32_e64 v11, s0, s25, v11, vcc_lo
	v_add_co_u32 v12, s0, v4, 2
	v_add_co_ci_u32_e64 v13, s0, 0, v6, s0
	v_sub_co_u32 v14, s0, v9, s24
	v_sub_co_ci_u32_e32 v10, vcc_lo, v8, v10, vcc_lo
	v_subrev_co_ci_u32_e64 v11, s0, 0, v11, s0
	v_cmp_le_u32_e32 vcc_lo, s24, v14
	v_cmp_eq_u32_e64 s0, s25, v10
	v_cndmask_b32_e64 v14, 0, -1, vcc_lo
	v_cmp_le_u32_e32 vcc_lo, s25, v11
	v_cndmask_b32_e64 v15, 0, -1, vcc_lo
	v_cmp_le_u32_e32 vcc_lo, s24, v9
	;; [unrolled: 2-line block ×3, first 2 shown]
	v_cndmask_b32_e64 v16, 0, -1, vcc_lo
	v_cmp_eq_u32_e32 vcc_lo, s25, v11
	v_cndmask_b32_e64 v9, v16, v9, s0
	v_cndmask_b32_e32 v11, v15, v14, vcc_lo
	v_add_co_u32 v14, vcc_lo, v4, 1
	v_add_co_ci_u32_e32 v15, vcc_lo, 0, v6, vcc_lo
	v_cmp_ne_u32_e32 vcc_lo, 0, v11
	v_cndmask_b32_e32 v10, v15, v13, vcc_lo
	v_cndmask_b32_e32 v11, v14, v12, vcc_lo
	v_cmp_ne_u32_e32 vcc_lo, 0, v9
	v_cndmask_b32_e32 v55, v6, v10, vcc_lo
	v_cndmask_b32_e32 v54, v4, v11, vcc_lo
.LBB0_4:                                ;   in Loop: Header=BB0_2 Depth=1
	s_andn2_saveexec_b32 s0, s1
	s_cbranch_execz .LBB0_6
; %bb.5:                                ;   in Loop: Header=BB0_2 Depth=1
	v_cvt_f32_u32_e32 v4, s24
	s_sub_i32 s1, 0, s24
	v_mov_b32_e32 v55, v5
	v_rcp_iflag_f32_e32 v4, v4
	v_mul_f32_e32 v4, 0x4f7ffffe, v4
	v_cvt_u32_f32_e32 v4, v4
	v_mul_lo_u32 v6, s1, v4
	v_mul_hi_u32 v6, v4, v6
	v_add_nc_u32_e32 v4, v4, v6
	v_mul_hi_u32 v4, v7, v4
	v_mul_lo_u32 v6, v4, s24
	v_add_nc_u32_e32 v9, 1, v4
	v_sub_nc_u32_e32 v6, v7, v6
	v_subrev_nc_u32_e32 v10, s24, v6
	v_cmp_le_u32_e32 vcc_lo, s24, v6
	v_cndmask_b32_e32 v6, v6, v10, vcc_lo
	v_cndmask_b32_e32 v4, v4, v9, vcc_lo
	v_cmp_le_u32_e32 vcc_lo, s24, v6
	v_add_nc_u32_e32 v9, 1, v4
	v_cndmask_b32_e32 v54, v4, v9, vcc_lo
.LBB0_6:                                ;   in Loop: Header=BB0_2 Depth=1
	s_or_b32 exec_lo, exec_lo, s0
	v_mul_lo_u32 v4, v55, s24
	v_mul_lo_u32 v6, v54, s25
	s_load_dwordx2 s[0:1], s[6:7], 0x0
	v_mad_u64_u32 v[9:10], null, v54, s24, 0
	s_load_dwordx2 s[24:25], s[2:3], 0x0
	s_add_u32 s22, s22, 1
	s_addc_u32 s23, s23, 0
	s_add_u32 s2, s2, 8
	s_addc_u32 s3, s3, 0
	s_add_u32 s6, s6, 8
	v_add3_u32 v4, v10, v6, v4
	v_sub_co_u32 v6, vcc_lo, v7, v9
	s_addc_u32 s7, s7, 0
	s_add_u32 s20, s20, 8
	v_sub_co_ci_u32_e32 v4, vcc_lo, v8, v4, vcc_lo
	s_addc_u32 s21, s21, 0
	s_waitcnt lgkmcnt(0)
	v_mul_lo_u32 v7, s0, v4
	v_mul_lo_u32 v8, s1, v6
	v_mad_u64_u32 v[1:2], null, s0, v6, v[1:2]
	v_mul_lo_u32 v4, s24, v4
	v_mul_lo_u32 v9, s25, v6
	v_mad_u64_u32 v[52:53], null, s24, v6, v[52:53]
	v_cmp_ge_u64_e64 s0, s[22:23], s[14:15]
	v_add3_u32 v2, v8, v2, v7
	v_add3_u32 v53, v9, v53, v4
	s_and_b32 vcc_lo, exec_lo, s0
	s_cbranch_vccnz .LBB0_8
; %bb.7:                                ;   in Loop: Header=BB0_2 Depth=1
	v_mov_b32_e32 v7, v54
	v_mov_b32_e32 v8, v55
	s_branch .LBB0_2
.LBB0_8:
	s_load_dwordx2 s[0:1], s[4:5], 0x28
	v_mul_hi_u32 v4, 0xb21642c9, v3
	s_lshl_b64 s[4:5], s[14:15], 3
                                        ; implicit-def: $vgpr56
	s_add_u32 s2, s18, s4
	s_addc_u32 s3, s19, s5
	v_lshrrev_b32_e32 v4, 4, v4
	v_mul_lo_u32 v5, v4, 23
	v_mul_hi_u32 v4, 0x1745d175, v0
	s_waitcnt lgkmcnt(0)
	v_cmp_gt_u64_e32 vcc_lo, s[0:1], v[54:55]
	v_cmp_le_u64_e64 s0, s[0:1], v[54:55]
	v_sub_nc_u32_e32 v3, v3, v5
	s_and_saveexec_b32 s1, s0
	s_xor_b32 s0, exec_lo, s1
; %bb.9:
	v_mul_u32_u24_e32 v1, 11, v4
                                        ; implicit-def: $vgpr4
	v_sub_nc_u32_e32 v56, v0, v1
                                        ; implicit-def: $vgpr0
                                        ; implicit-def: $vgpr1_vgpr2
; %bb.10:
	s_or_saveexec_b32 s1, s0
	v_mul_u32_u24_e32 v3, 0x43, v3
	v_lshlrev_b32_e32 v3, 4, v3
	s_xor_b32 exec_lo, exec_lo, s1
	s_cbranch_execz .LBB0_12
; %bb.11:
	s_add_u32 s4, s16, s4
	s_addc_u32 s5, s17, s5
	v_lshlrev_b64 v[1:2], 4, v[1:2]
	s_load_dwordx2 s[4:5], s[4:5], 0x0
	s_waitcnt lgkmcnt(0)
	v_mul_lo_u32 v7, s5, v54
	v_mul_lo_u32 v8, s4, v55
	v_mad_u64_u32 v[5:6], null, s4, v54, 0
	v_add3_u32 v6, v6, v8, v7
	v_mul_u32_u24_e32 v7, 11, v4
	v_lshlrev_b64 v[4:5], 4, v[5:6]
	v_sub_nc_u32_e32 v56, v0, v7
	v_lshlrev_b32_e32 v28, 4, v56
	v_add_co_u32 v0, s0, s8, v4
	v_add_co_ci_u32_e64 v4, s0, s9, v5, s0
	v_add_co_u32 v0, s0, v0, v1
	v_add_co_ci_u32_e64 v1, s0, v4, v2, s0
	;; [unrolled: 2-line block ×3, first 2 shown]
	s_clause 0x5
	global_load_dwordx4 v[4:7], v[0:1], off
	global_load_dwordx4 v[8:11], v[0:1], off offset:176
	global_load_dwordx4 v[12:15], v[0:1], off offset:352
	;; [unrolled: 1-line block ×5, first 2 shown]
	v_add3_u32 v0, 0, v3, v28
	s_waitcnt vmcnt(5)
	ds_write_b128 v0, v[4:7]
	s_waitcnt vmcnt(4)
	ds_write_b128 v0, v[8:11] offset:176
	s_waitcnt vmcnt(3)
	ds_write_b128 v0, v[12:15] offset:352
	;; [unrolled: 2-line block ×5, first 2 shown]
.LBB0_12:
	s_or_b32 exec_lo, exec_lo, s1
	v_lshlrev_b32_e32 v71, 4, v56
	s_load_dwordx2 s[2:3], s[2:3], 0x0
	s_waitcnt lgkmcnt(0)
	s_barrier
	buffer_gl0_inv
	v_add3_u32 v72, 0, v71, v3
	v_add_nc_u32_e32 v69, 0, v3
	s_mov_b32 s0, 0xe8584caa
	s_mov_b32 s1, 0xbfebb67a
	s_mov_b32 s5, 0x3febb67a
	ds_read_b128 v[4:7], v72 offset:528
	ds_read_b128 v[8:11], v72 offset:880
	;; [unrolled: 1-line block ×5, first 2 shown]
	v_add_nc_u32_e32 v70, v69, v71
	s_mov_b32 s4, s0
                                        ; implicit-def: $vgpr50_vgpr51
                                        ; implicit-def: $vgpr46_vgpr47
                                        ; implicit-def: $vgpr42_vgpr43
	s_waitcnt lgkmcnt(3)
	v_add_f64 v[0:1], v[6:7], v[10:11]
	v_add_f64 v[24:25], v[4:5], v[8:9]
	v_add_f64 v[26:27], v[4:5], -v[8:9]
	s_waitcnt lgkmcnt(0)
	v_add_f64 v[30:31], v[16:17], v[20:21]
	v_add_f64 v[32:33], v[18:19], v[22:23]
	v_add_f64 v[34:35], v[6:7], -v[10:11]
	v_add_f64 v[38:39], v[18:19], -v[22:23]
	v_add_f64 v[4:5], v[12:13], v[4:5]
	v_add_f64 v[6:7], v[14:15], v[6:7]
	v_fma_f64 v[28:29], v[0:1], -0.5, v[14:15]
	v_fma_f64 v[24:25], v[24:25], -0.5, v[12:13]
	ds_read_b128 v[0:3], v70
	s_waitcnt lgkmcnt(0)
	s_barrier
	buffer_gl0_inv
	v_add_f64 v[4:5], v[4:5], v[8:9]
	v_add_f64 v[6:7], v[6:7], v[10:11]
	;; [unrolled: 1-line block ×3, first 2 shown]
	v_fma_f64 v[36:37], v[26:27], s[4:5], v[28:29]
	v_fma_f64 v[26:27], v[26:27], s[0:1], v[28:29]
	v_add_f64 v[28:29], v[0:1], v[16:17]
	v_add_f64 v[16:17], v[16:17], -v[20:21]
	v_fma_f64 v[0:1], v[30:31], -0.5, v[0:1]
	v_fma_f64 v[2:3], v[32:33], -0.5, v[2:3]
	v_fma_f64 v[12:13], v[34:35], s[0:1], v[24:25]
	v_fma_f64 v[14:15], v[34:35], s[4:5], v[24:25]
	v_add_f64 v[18:19], v[18:19], v[22:23]
	v_mul_f64 v[24:25], v[36:37], s[0:1]
	v_mul_f64 v[30:31], v[26:27], s[0:1]
	v_mul_f64 v[32:33], v[36:37], 0.5
	v_mul_f64 v[26:27], v[26:27], -0.5
	v_add_f64 v[20:21], v[28:29], v[20:21]
	v_fma_f64 v[8:9], v[38:39], s[0:1], v[0:1]
	v_fma_f64 v[10:11], v[38:39], s[4:5], v[0:1]
	;; [unrolled: 1-line block ×4, first 2 shown]
	v_cmp_gt_u32_e64 s0, 6, v56
                                        ; implicit-def: $vgpr38_vgpr39
	v_add_f64 v[2:3], v[18:19], v[6:7]
	v_fma_f64 v[28:29], v[12:13], 0.5, v[24:25]
	v_fma_f64 v[30:31], v[14:15], -0.5, v[30:31]
	v_fma_f64 v[12:13], v[12:13], s[4:5], v[32:33]
	v_fma_f64 v[14:15], v[14:15], s[4:5], v[26:27]
	v_add_f64 v[0:1], v[20:21], v[4:5]
	v_add_f64 v[24:25], v[20:21], -v[4:5]
	v_add_f64 v[26:27], v[18:19], -v[6:7]
	v_add_f64 v[20:21], v[8:9], v[28:29]
	v_add_f64 v[4:5], v[10:11], v[30:31]
	;; [unrolled: 1-line block ×4, first 2 shown]
	v_add_f64 v[28:29], v[8:9], -v[28:29]
	v_add_f64 v[32:33], v[10:11], -v[30:31]
	;; [unrolled: 1-line block ×4, first 2 shown]
	v_mad_u32_u24 v8, 0x50, v56, v72
                                        ; implicit-def: $vgpr10_vgpr11
	ds_write_b128 v8, v[0:3]
	ds_write_b128 v8, v[24:27] offset:48
	ds_write_b128 v8, v[20:23] offset:16
	;; [unrolled: 1-line block ×5, first 2 shown]
	s_waitcnt lgkmcnt(0)
	s_barrier
	buffer_gl0_inv
	s_and_saveexec_b32 s1, s0
	s_cbranch_execz .LBB0_14
; %bb.13:
	ds_read_b128 v[0:3], v70
	ds_read_b128 v[20:23], v72 offset:96
	ds_read_b128 v[4:7], v72 offset:192
	;; [unrolled: 1-line block ×10, first 2 shown]
.LBB0_14:
	s_or_b32 exec_lo, exec_lo, s1
	s_waitcnt lgkmcnt(0)
	s_barrier
	buffer_gl0_inv
	s_and_saveexec_b32 s33, s0
	s_cbranch_execz .LBB0_16
; %bb.15:
	v_add_nc_u32_e32 v12, -6, v56
	v_mov_b32_e32 v13, 0
	s_mov_b32 s20, 0xbb3a28a1
	s_mov_b32 s22, 0xf8bb580b
	;; [unrolled: 1-line block ×3, first 2 shown]
	v_cndmask_b32_e64 v12, v12, v56, s0
	s_mov_b32 s14, 0x43842ef
	s_mov_b32 s21, 0xbfe82f19
	;; [unrolled: 1-line block ×4, first 2 shown]
	v_mul_i32_i24_e32 v12, 10, v12
	s_mov_b32 s27, 0xbfe14ced
	s_mov_b32 s26, s22
	;; [unrolled: 1-line block ×4, first 2 shown]
	v_lshlrev_b64 v[12:13], 4, v[12:13]
	s_mov_b32 s18, 0x8eee2c13
	s_mov_b32 s6, 0x7f775887
	;; [unrolled: 1-line block ×5, first 2 shown]
	v_add_co_u32 v12, s0, s12, v12
	v_add_co_ci_u32_e64 v13, s0, s13, v13, s0
	s_mov_b32 s0, 0x640f44db
	s_mov_b32 s9, 0x3feaeb8c
	;; [unrolled: 1-line block ×3, first 2 shown]
	s_clause 0x9
	global_load_dwordx4 v[59:62], v[12:13], off offset:64
	global_load_dwordx4 v[73:76], v[12:13], off offset:80
	;; [unrolled: 1-line block ×6, first 2 shown]
	global_load_dwordx4 v[93:96], v[12:13], off
	global_load_dwordx4 v[97:100], v[12:13], off offset:144
	global_load_dwordx4 v[16:19], v[12:13], off offset:16
	;; [unrolled: 1-line block ×3, first 2 shown]
	s_mov_b32 s29, 0x3fd207e7
	s_mov_b32 s31, 0x3fefac9e
	;; [unrolled: 1-line block ×7, first 2 shown]
	s_waitcnt vmcnt(9)
	v_mul_f64 v[57:58], v[34:35], v[61:62]
	v_mul_f64 v[101:102], v[32:33], v[61:62]
	s_waitcnt vmcnt(8)
	v_mul_f64 v[103:104], v[38:39], v[75:76]
	v_mul_f64 v[75:76], v[36:37], v[75:76]
	;; [unrolled: 3-line block ×3, first 2 shown]
	s_waitcnt vmcnt(3)
	v_mul_f64 v[113:114], v[22:23], v[95:96]
	s_waitcnt vmcnt(2)
	v_mul_f64 v[115:116], v[50:51], v[99:100]
	v_mul_f64 v[95:96], v[20:21], v[95:96]
	;; [unrolled: 1-line block ×3, first 2 shown]
	s_waitcnt vmcnt(1)
	v_mul_f64 v[61:62], v[6:7], v[18:19]
	v_mul_f64 v[65:66], v[4:5], v[18:19]
	s_waitcnt vmcnt(0)
	v_mul_f64 v[63:64], v[10:11], v[14:15]
	v_mul_f64 v[67:68], v[8:9], v[14:15]
	;; [unrolled: 1-line block ×8, first 2 shown]
	v_fma_f64 v[57:58], v[32:33], v[59:60], v[57:58]
	v_fma_f64 v[59:60], v[34:35], v[59:60], -v[101:102]
	v_fma_f64 v[32:33], v[36:37], v[73:74], v[103:104]
	v_fma_f64 v[34:35], v[38:39], v[73:74], -v[75:76]
	;; [unrolled: 2-line block ×3, first 2 shown]
	v_fma_f64 v[20:21], v[20:21], v[93:94], v[113:114]
	v_fma_f64 v[14:15], v[48:49], v[97:98], v[115:116]
	v_fma_f64 v[22:23], v[22:23], v[93:94], -v[95:96]
	v_fma_f64 v[18:19], v[50:51], v[97:98], -v[99:100]
	v_fma_f64 v[4:5], v[4:5], v[16:17], v[61:62]
	v_fma_f64 v[6:7], v[6:7], v[16:17], -v[65:66]
	v_fma_f64 v[8:9], v[8:9], v[12:13], v[63:64]
	;; [unrolled: 2-line block ×5, first 2 shown]
	v_fma_f64 v[26:27], v[46:47], v[89:90], -v[91:92]
	v_add_f64 v[44:45], v[57:58], -v[32:33]
	v_add_f64 v[46:47], v[59:60], -v[34:35]
	v_add_f64 v[81:82], v[59:60], v[34:35]
	v_add_f64 v[83:84], v[57:58], v[32:33]
	v_add_f64 v[50:51], v[20:21], -v[14:15]
	v_add_f64 v[67:68], v[20:21], v[14:15]
	v_add_f64 v[63:64], v[22:23], -v[18:19]
	v_add_f64 v[65:66], v[22:23], v[18:19]
	v_add_f64 v[22:23], v[2:3], v[22:23]
	;; [unrolled: 1-line block ×3, first 2 shown]
	v_add_f64 v[85:86], v[4:5], -v[8:9]
	v_add_f64 v[87:88], v[6:7], v[10:11]
	v_add_f64 v[89:90], v[6:7], -v[10:11]
	v_add_f64 v[91:92], v[4:5], v[8:9]
	v_add_f64 v[12:13], v[36:37], -v[28:29]
	v_add_f64 v[16:17], v[38:39], -v[30:31]
	;; [unrolled: 1-line block ×4, first 2 shown]
	v_add_f64 v[73:74], v[42:43], v[26:27]
	v_add_f64 v[75:76], v[40:41], v[24:25]
	;; [unrolled: 1-line block ×3, first 2 shown]
	v_mul_f64 v[97:98], v[44:45], s[18:19]
	v_mul_f64 v[99:100], v[46:47], s[18:19]
	v_add_f64 v[79:80], v[36:37], v[28:29]
	v_mul_f64 v[141:142], v[44:45], s[14:15]
	v_mul_f64 v[143:144], v[44:45], s[20:21]
	;; [unrolled: 1-line block ×6, first 2 shown]
	v_add_f64 v[6:7], v[22:23], v[6:7]
	v_add_f64 v[4:5], v[20:21], v[4:5]
	v_mul_f64 v[115:116], v[63:64], s[20:21]
	v_mul_f64 v[119:120], v[63:64], s[26:27]
	;; [unrolled: 1-line block ×8, first 2 shown]
	s_mov_b32 s19, 0xbfed1bb4
	v_mul_f64 v[121:122], v[48:49], s[20:21]
	v_mul_f64 v[50:51], v[50:51], s[18:19]
	;; [unrolled: 1-line block ×11, first 2 shown]
	v_add_f64 v[6:7], v[6:7], v[42:43]
	v_add_f64 v[4:5], v[4:5], v[40:41]
	v_mul_f64 v[22:23], v[12:13], s[26:27]
	v_mul_f64 v[133:134], v[12:13], s[20:21]
	;; [unrolled: 1-line block ×20, first 2 shown]
	v_add_f64 v[6:7], v[6:7], v[38:39]
	v_add_f64 v[4:5], v[4:5], v[36:37]
	v_mul_f64 v[167:168], v[89:90], s[20:21]
	v_mul_f64 v[85:86], v[85:86], s[18:19]
	;; [unrolled: 1-line block ×3, first 2 shown]
	v_fma_f64 v[169:170], v[65:66], s[16:17], v[103:104]
	v_fma_f64 v[103:104], v[65:66], s[16:17], -v[103:104]
	v_fma_f64 v[171:172], v[65:66], s[6:7], v[107:108]
	v_fma_f64 v[173:174], v[67:68], s[16:17], -v[109:110]
	;; [unrolled: 2-line block ×4, first 2 shown]
	v_fma_f64 v[183:184], v[67:68], s[8:9], -v[119:120]
	v_fma_f64 v[119:120], v[67:68], s[8:9], v[119:120]
	v_fma_f64 v[107:108], v[65:66], s[6:7], -v[107:108]
	v_fma_f64 v[175:176], v[65:66], s[0:1], v[111:112]
	v_fma_f64 v[111:112], v[65:66], s[0:1], -v[111:112]
	v_fma_f64 v[181:182], v[67:68], s[0:1], -v[117:118]
	v_fma_f64 v[117:118], v[67:68], s[0:1], v[117:118]
	v_fma_f64 v[115:116], v[67:68], s[6:7], v[115:116]
	;; [unrolled: 1-line block ×3, first 2 shown]
	v_fma_f64 v[50:51], v[65:66], s[4:5], -v[50:51]
	v_fma_f64 v[65:66], v[67:68], s[4:5], -v[63:64]
	v_fma_f64 v[63:64], v[67:68], s[4:5], v[63:64]
	v_add_f64 v[6:7], v[6:7], v[59:60]
	v_add_f64 v[4:5], v[4:5], v[57:58]
	v_fma_f64 v[185:186], v[73:74], s[6:7], v[121:122]
	v_fma_f64 v[187:188], v[75:76], s[6:7], -v[123:124]
	v_fma_f64 v[121:122], v[73:74], s[6:7], -v[121:122]
	v_fma_f64 v[123:124], v[75:76], s[6:7], v[123:124]
	v_fma_f64 v[189:190], v[73:74], s[8:9], v[125:126]
	v_fma_f64 v[125:126], v[73:74], s[8:9], -v[125:126]
	v_fma_f64 v[191:192], v[73:74], s[4:5], v[101:102]
	v_fma_f64 v[101:102], v[73:74], s[4:5], -v[101:102]
	v_fma_f64 v[42:43], v[73:74], s[0:1], -v[129:130]
	v_fma_f64 v[40:41], v[73:74], s[16:17], v[48:49]
	v_fma_f64 v[48:49], v[73:74], s[16:17], -v[48:49]
	v_fma_f64 v[73:74], v[73:74], s[0:1], v[129:130]
	v_fma_f64 v[129:130], v[75:76], s[8:9], -v[127:128]
	v_fma_f64 v[127:128], v[75:76], s[8:9], v[127:128]
	v_fma_f64 v[193:194], v[75:76], s[4:5], -v[105:106]
	v_fma_f64 v[105:106], v[75:76], s[4:5], v[105:106]
	v_fma_f64 v[195:196], v[75:76], s[16:17], -v[61:62]
	v_fma_f64 v[61:62], v[75:76], s[16:17], v[61:62]
	v_fma_f64 v[197:198], v[75:76], s[0:1], v[131:132]
	v_fma_f64 v[75:76], v[75:76], s[0:1], -v[131:132]
	v_fma_f64 v[131:132], v[77:78], s[4:5], v[93:94]
	v_fma_f64 v[93:94], v[77:78], s[4:5], -v[93:94]
	v_fma_f64 v[199:200], v[77:78], s[16:17], v[20:21]
	v_fma_f64 v[20:21], v[77:78], s[16:17], -v[20:21]
	v_fma_f64 v[201:202], v[77:78], s[8:9], v[22:23]
	v_fma_f64 v[22:23], v[77:78], s[8:9], -v[22:23]
	v_fma_f64 v[203:204], v[77:78], s[0:1], v[12:13]
	v_fma_f64 v[12:13], v[77:78], s[0:1], -v[12:13]
	v_fma_f64 v[205:206], v[77:78], s[6:7], -v[133:134]
	v_fma_f64 v[77:78], v[77:78], s[6:7], v[133:134]
	v_fma_f64 v[133:134], v[79:80], s[4:5], -v[95:96]
	v_fma_f64 v[95:96], v[79:80], s[4:5], v[95:96]
	v_fma_f64 v[207:208], v[79:80], s[16:17], -v[135:136]
	v_fma_f64 v[135:136], v[79:80], s[16:17], v[135:136]
	v_fma_f64 v[209:210], v[79:80], s[8:9], -v[137:138]
	v_fma_f64 v[137:138], v[79:80], s[8:9], v[137:138]
	v_fma_f64 v[211:212], v[79:80], s[0:1], -v[16:17]
	v_fma_f64 v[16:17], v[79:80], s[0:1], v[16:17]
	v_fma_f64 v[213:214], v[79:80], s[6:7], v[139:140]
	v_fma_f64 v[79:80], v[79:80], s[6:7], -v[139:140]
	v_fma_f64 v[139:140], v[81:82], s[0:1], v[141:142]
	v_fma_f64 v[141:142], v[81:82], s[0:1], -v[141:142]
	v_fma_f64 v[215:216], v[81:82], s[4:5], v[97:98]
	v_fma_f64 v[97:98], v[81:82], s[4:5], -v[97:98]
	;; [unrolled: 20-line block ×3, first 2 shown]
	v_fma_f64 v[38:39], v[87:88], s[16:17], v[157:158]
	v_fma_f64 v[155:156], v[87:88], s[16:17], -v[157:158]
	v_fma_f64 v[157:158], v[87:88], s[6:7], v[159:160]
	v_fma_f64 v[159:160], v[87:88], s[6:7], -v[159:160]
	v_fma_f64 v[233:234], v[91:92], s[8:9], -v[161:162]
	v_fma_f64 v[161:162], v[91:92], s[8:9], v[161:162]
	v_fma_f64 v[235:236], v[91:92], s[0:1], -v[163:164]
	v_fma_f64 v[163:164], v[91:92], s[0:1], v[163:164]
	;; [unrolled: 2-line block ×5, first 2 shown]
	v_fma_f64 v[87:88], v[91:92], s[4:5], v[89:90]
	v_fma_f64 v[57:58], v[91:92], s[4:5], -v[89:90]
	v_add_f64 v[59:60], v[2:3], v[169:170]
	v_add_f64 v[89:90], v[0:1], v[173:174]
	;; [unrolled: 1-line block ×110, first 2 shown]
	ds_write_b128 v72, v[32:35] offset:96
	ds_write_b128 v72, v[28:31] offset:288
	;; [unrolled: 1-line block ×9, first 2 shown]
	ds_write_b128 v70, v[44:47]
	ds_write_b128 v72, v[14:17] offset:960
.LBB0_16:
	s_or_b32 exec_lo, exec_lo, s33
	s_waitcnt lgkmcnt(0)
	s_barrier
	buffer_gl0_inv
	ds_read_b128 v[0:3], v70
	v_sub_nc_u32_e32 v10, v69, v71
	s_mov_b32 s1, exec_lo
                                        ; implicit-def: $vgpr6_vgpr7
                                        ; implicit-def: $vgpr4_vgpr5
                                        ; implicit-def: $vgpr8_vgpr9
	v_cmpx_ne_u32_e32 0, v56
	s_xor_b32 s1, exec_lo, s1
	s_cbranch_execz .LBB0_18
; %bb.17:
	v_mov_b32_e32 v57, 0
	ds_read_b128 v[11:14], v10 offset:1056
	v_lshlrev_b64 v[4:5], 4, v[56:57]
	v_add_co_u32 v4, s0, s12, v4
	v_add_co_ci_u32_e64 v5, s0, s13, v5, s0
	global_load_dwordx4 v[6:9], v[4:5], off offset:960
	s_waitcnt lgkmcnt(0)
	v_add_f64 v[4:5], v[0:1], -v[11:12]
	v_add_f64 v[15:16], v[2:3], v[13:14]
	v_add_f64 v[2:3], v[2:3], -v[13:14]
	v_add_f64 v[0:1], v[0:1], v[11:12]
	v_mul_f64 v[4:5], v[4:5], 0.5
	v_mul_f64 v[13:14], v[15:16], 0.5
	;; [unrolled: 1-line block ×3, first 2 shown]
	s_waitcnt vmcnt(0)
	v_mul_f64 v[11:12], v[4:5], v[8:9]
	v_fma_f64 v[15:16], v[13:14], v[8:9], v[2:3]
	v_fma_f64 v[2:3], v[13:14], v[8:9], -v[2:3]
	v_fma_f64 v[8:9], v[0:1], 0.5, v[11:12]
	v_fma_f64 v[0:1], v[0:1], 0.5, -v[11:12]
	v_fma_f64 v[11:12], -v[6:7], v[4:5], v[15:16]
	v_fma_f64 v[2:3], -v[6:7], v[4:5], v[2:3]
	ds_write_b64 v70, v[11:12] offset:8
	ds_write_b64 v10, v[2:3] offset:1064
	v_fma_f64 v[4:5], v[13:14], v[6:7], v[8:9]
	v_mov_b32_e32 v8, v56
	v_fma_f64 v[6:7], -v[13:14], v[6:7], v[0:1]
	v_mov_b32_e32 v9, v57
                                        ; implicit-def: $vgpr0_vgpr1
.LBB0_18:
	s_andn2_saveexec_b32 s0, s1
	s_cbranch_execz .LBB0_20
; %bb.19:
	s_mov_b32 s4, 0
	s_waitcnt lgkmcnt(0)
	v_add_f64 v[6:7], v[0:1], -v[2:3]
	s_mov_b32 s5, s4
	v_mov_b32_e32 v4, s4
	v_mov_b32_e32 v5, s5
	;; [unrolled: 1-line block ×4, first 2 shown]
	ds_write_b64 v70, v[4:5] offset:8
	ds_write_b64 v10, v[4:5] offset:1064
	ds_read_b64 v[11:12], v69 offset:536
	v_add_f64 v[4:5], v[0:1], v[2:3]
	s_waitcnt lgkmcnt(0)
	v_xor_b32_e32 v12, 0x80000000, v12
	ds_write_b64 v69, v[11:12] offset:536
.LBB0_20:
	s_or_b32 exec_lo, exec_lo, s0
	s_waitcnt lgkmcnt(0)
	v_lshlrev_b64 v[0:1], 4, v[8:9]
	s_add_u32 s0, s12, 0x3c0
	s_addc_u32 s1, s13, 0
	v_add_co_u32 v8, s0, s0, v0
	v_add_co_ci_u32_e64 v9, s0, s1, v1, s0
	s_clause 0x1
	global_load_dwordx4 v[0:3], v[8:9], off offset:176
	global_load_dwordx4 v[11:14], v[8:9], off offset:352
	ds_write_b64 v70, v[4:5]
	ds_write_b64 v10, v[6:7] offset:1056
	ds_read_b128 v[4:7], v70 offset:176
	ds_read_b128 v[15:18], v10 offset:880
	s_waitcnt lgkmcnt(0)
	v_add_f64 v[8:9], v[4:5], -v[15:16]
	v_add_f64 v[19:20], v[6:7], v[17:18]
	v_add_f64 v[6:7], v[6:7], -v[17:18]
	v_add_f64 v[4:5], v[4:5], v[15:16]
	v_mul_f64 v[8:9], v[8:9], 0.5
	v_mul_f64 v[17:18], v[19:20], 0.5
	;; [unrolled: 1-line block ×3, first 2 shown]
	s_waitcnt vmcnt(1)
	v_mul_f64 v[15:16], v[8:9], v[2:3]
	v_fma_f64 v[19:20], v[17:18], v[2:3], v[6:7]
	v_fma_f64 v[2:3], v[17:18], v[2:3], -v[6:7]
	v_fma_f64 v[6:7], v[4:5], 0.5, v[15:16]
	v_fma_f64 v[4:5], v[4:5], 0.5, -v[15:16]
	v_fma_f64 v[15:16], -v[0:1], v[8:9], v[19:20]
	v_fma_f64 v[2:3], -v[0:1], v[8:9], v[2:3]
	v_fma_f64 v[6:7], v[17:18], v[0:1], v[6:7]
	v_fma_f64 v[0:1], -v[17:18], v[0:1], v[4:5]
	ds_write2_b64 v70, v[6:7], v[15:16] offset0:22 offset1:23
	ds_write_b128 v10, v[0:3] offset:880
	ds_read_b128 v[0:3], v70 offset:352
	ds_read_b128 v[4:7], v10 offset:704
	s_waitcnt lgkmcnt(0)
	v_add_f64 v[8:9], v[0:1], -v[4:5]
	v_add_f64 v[15:16], v[2:3], v[6:7]
	v_add_f64 v[2:3], v[2:3], -v[6:7]
	v_add_f64 v[0:1], v[0:1], v[4:5]
	v_mul_f64 v[6:7], v[8:9], 0.5
	v_mul_f64 v[8:9], v[15:16], 0.5
	v_mul_f64 v[2:3], v[2:3], 0.5
	s_waitcnt vmcnt(0)
	v_mul_f64 v[4:5], v[6:7], v[13:14]
	v_fma_f64 v[15:16], v[8:9], v[13:14], v[2:3]
	v_fma_f64 v[2:3], v[8:9], v[13:14], -v[2:3]
	v_fma_f64 v[13:14], v[0:1], 0.5, v[4:5]
	v_fma_f64 v[0:1], v[0:1], 0.5, -v[4:5]
	v_fma_f64 v[4:5], -v[11:12], v[6:7], v[15:16]
	v_fma_f64 v[2:3], -v[11:12], v[6:7], v[2:3]
	v_fma_f64 v[6:7], v[8:9], v[11:12], v[13:14]
	v_fma_f64 v[0:1], -v[8:9], v[11:12], v[0:1]
	ds_write2_b64 v70, v[6:7], v[4:5] offset0:44 offset1:45
	ds_write_b128 v10, v[0:3] offset:704
	s_waitcnt lgkmcnt(0)
	s_barrier
	buffer_gl0_inv
	s_and_saveexec_b32 s0, vcc_lo
	s_cbranch_execz .LBB0_23
; %bb.21:
	v_mul_lo_u32 v2, s3, v54
	v_mul_lo_u32 v3, s2, v55
	v_mad_u64_u32 v[0:1], null, s2, v54, 0
	v_mov_b32_e32 v57, 0
	v_lshlrev_b64 v[11:12], 4, v[52:53]
	v_add_nc_u32_e32 v13, 11, v56
	v_add_nc_u32_e32 v25, 55, v56
	v_mov_b32_e32 v14, v57
	v_add3_u32 v1, v1, v3, v2
	v_lshl_add_u32 v2, v56, 4, v69
	v_lshlrev_b64 v[15:16], 4, v[56:57]
	ds_read_b128 v[3:6], v2
	ds_read_b128 v[7:10], v2 offset:176
	v_lshlrev_b64 v[0:1], 4, v[0:1]
	v_mov_b32_e32 v26, v57
	v_add_co_u32 v0, vcc_lo, s10, v0
	v_add_co_ci_u32_e32 v1, vcc_lo, s11, v1, vcc_lo
	v_lshlrev_b64 v[25:26], 4, v[25:26]
	v_add_co_u32 v0, vcc_lo, v0, v11
	v_add_co_ci_u32_e32 v1, vcc_lo, v1, v12, vcc_lo
	v_lshlrev_b64 v[11:12], 4, v[13:14]
	v_add_co_u32 v13, vcc_lo, v0, v15
	v_add_co_ci_u32_e32 v14, vcc_lo, v1, v16, vcc_lo
	v_add_nc_u32_e32 v15, 22, v56
	v_add_co_u32 v11, vcc_lo, v0, v11
	v_mov_b32_e32 v16, v57
	v_add_co_ci_u32_e32 v12, vcc_lo, v1, v12, vcc_lo
	s_waitcnt lgkmcnt(1)
	global_store_dwordx4 v[13:14], v[3:6], off
	s_waitcnt lgkmcnt(0)
	global_store_dwordx4 v[11:12], v[7:10], off
	v_lshlrev_b64 v[3:4], 4, v[15:16]
	v_add_nc_u32_e32 v11, 33, v56
	v_mov_b32_e32 v12, v57
	v_add_nc_u32_e32 v13, 44, v56
	v_mov_b32_e32 v14, v57
	v_add_co_u32 v19, vcc_lo, v0, v3
	v_add_co_ci_u32_e32 v20, vcc_lo, v1, v4, vcc_lo
	ds_read_b128 v[3:6], v2 offset:352
	ds_read_b128 v[7:10], v2 offset:528
	v_lshlrev_b64 v[21:22], 4, v[11:12]
	v_lshlrev_b64 v[23:24], 4, v[13:14]
	ds_read_b128 v[11:14], v2 offset:704
	ds_read_b128 v[15:18], v2 offset:880
	v_add_co_u32 v21, vcc_lo, v0, v21
	v_add_co_ci_u32_e32 v22, vcc_lo, v1, v22, vcc_lo
	v_add_co_u32 v23, vcc_lo, v0, v23
	v_add_co_ci_u32_e32 v24, vcc_lo, v1, v24, vcc_lo
	;; [unrolled: 2-line block ×3, first 2 shown]
	v_cmp_eq_u32_e32 vcc_lo, 10, v56
	s_waitcnt lgkmcnt(3)
	global_store_dwordx4 v[19:20], v[3:6], off
	s_waitcnt lgkmcnt(2)
	global_store_dwordx4 v[21:22], v[7:10], off
	;; [unrolled: 2-line block ×4, first 2 shown]
	s_and_b32 exec_lo, exec_lo, vcc_lo
	s_cbranch_execz .LBB0_23
; %bb.22:
	ds_read_b128 v[2:5], v2 offset:896
	s_waitcnt lgkmcnt(0)
	global_store_dwordx4 v[0:1], v[2:5], off offset:1056
.LBB0_23:
	s_endpgm
	.section	.rodata,"a",@progbits
	.p2align	6, 0x0
	.amdhsa_kernel fft_rtc_back_len66_factors_6_11_wgs_253_tpt_11_dp_op_CI_CI_unitstride_sbrr_R2C_dirReg
		.amdhsa_group_segment_fixed_size 0
		.amdhsa_private_segment_fixed_size 0
		.amdhsa_kernarg_size 104
		.amdhsa_user_sgpr_count 6
		.amdhsa_user_sgpr_private_segment_buffer 1
		.amdhsa_user_sgpr_dispatch_ptr 0
		.amdhsa_user_sgpr_queue_ptr 0
		.amdhsa_user_sgpr_kernarg_segment_ptr 1
		.amdhsa_user_sgpr_dispatch_id 0
		.amdhsa_user_sgpr_flat_scratch_init 0
		.amdhsa_user_sgpr_private_segment_size 0
		.amdhsa_wavefront_size32 1
		.amdhsa_uses_dynamic_stack 0
		.amdhsa_system_sgpr_private_segment_wavefront_offset 0
		.amdhsa_system_sgpr_workgroup_id_x 1
		.amdhsa_system_sgpr_workgroup_id_y 0
		.amdhsa_system_sgpr_workgroup_id_z 0
		.amdhsa_system_sgpr_workgroup_info 0
		.amdhsa_system_vgpr_workitem_id 0
		.amdhsa_next_free_vgpr 243
		.amdhsa_next_free_sgpr 34
		.amdhsa_reserve_vcc 1
		.amdhsa_reserve_flat_scratch 0
		.amdhsa_float_round_mode_32 0
		.amdhsa_float_round_mode_16_64 0
		.amdhsa_float_denorm_mode_32 3
		.amdhsa_float_denorm_mode_16_64 3
		.amdhsa_dx10_clamp 1
		.amdhsa_ieee_mode 1
		.amdhsa_fp16_overflow 0
		.amdhsa_workgroup_processor_mode 1
		.amdhsa_memory_ordered 1
		.amdhsa_forward_progress 0
		.amdhsa_shared_vgpr_count 0
		.amdhsa_exception_fp_ieee_invalid_op 0
		.amdhsa_exception_fp_denorm_src 0
		.amdhsa_exception_fp_ieee_div_zero 0
		.amdhsa_exception_fp_ieee_overflow 0
		.amdhsa_exception_fp_ieee_underflow 0
		.amdhsa_exception_fp_ieee_inexact 0
		.amdhsa_exception_int_div_zero 0
	.end_amdhsa_kernel
	.text
.Lfunc_end0:
	.size	fft_rtc_back_len66_factors_6_11_wgs_253_tpt_11_dp_op_CI_CI_unitstride_sbrr_R2C_dirReg, .Lfunc_end0-fft_rtc_back_len66_factors_6_11_wgs_253_tpt_11_dp_op_CI_CI_unitstride_sbrr_R2C_dirReg
                                        ; -- End function
	.section	.AMDGPU.csdata,"",@progbits
; Kernel info:
; codeLenInByte = 6516
; NumSgprs: 36
; NumVgprs: 243
; ScratchSize: 0
; MemoryBound: 0
; FloatMode: 240
; IeeeMode: 1
; LDSByteSize: 0 bytes/workgroup (compile time only)
; SGPRBlocks: 4
; VGPRBlocks: 30
; NumSGPRsForWavesPerEU: 36
; NumVGPRsForWavesPerEU: 243
; Occupancy: 4
; WaveLimiterHint : 1
; COMPUTE_PGM_RSRC2:SCRATCH_EN: 0
; COMPUTE_PGM_RSRC2:USER_SGPR: 6
; COMPUTE_PGM_RSRC2:TRAP_HANDLER: 0
; COMPUTE_PGM_RSRC2:TGID_X_EN: 1
; COMPUTE_PGM_RSRC2:TGID_Y_EN: 0
; COMPUTE_PGM_RSRC2:TGID_Z_EN: 0
; COMPUTE_PGM_RSRC2:TIDIG_COMP_CNT: 0
	.text
	.p2alignl 6, 3214868480
	.fill 48, 4, 3214868480
	.type	__hip_cuid_282df0efa58c4244,@object ; @__hip_cuid_282df0efa58c4244
	.section	.bss,"aw",@nobits
	.globl	__hip_cuid_282df0efa58c4244
__hip_cuid_282df0efa58c4244:
	.byte	0                               ; 0x0
	.size	__hip_cuid_282df0efa58c4244, 1

	.ident	"AMD clang version 19.0.0git (https://github.com/RadeonOpenCompute/llvm-project roc-6.4.0 25133 c7fe45cf4b819c5991fe208aaa96edf142730f1d)"
	.section	".note.GNU-stack","",@progbits
	.addrsig
	.addrsig_sym __hip_cuid_282df0efa58c4244
	.amdgpu_metadata
---
amdhsa.kernels:
  - .args:
      - .actual_access:  read_only
        .address_space:  global
        .offset:         0
        .size:           8
        .value_kind:     global_buffer
      - .offset:         8
        .size:           8
        .value_kind:     by_value
      - .actual_access:  read_only
        .address_space:  global
        .offset:         16
        .size:           8
        .value_kind:     global_buffer
      - .actual_access:  read_only
        .address_space:  global
        .offset:         24
        .size:           8
        .value_kind:     global_buffer
      - .actual_access:  read_only
        .address_space:  global
        .offset:         32
        .size:           8
        .value_kind:     global_buffer
      - .offset:         40
        .size:           8
        .value_kind:     by_value
      - .actual_access:  read_only
        .address_space:  global
        .offset:         48
        .size:           8
        .value_kind:     global_buffer
      - .actual_access:  read_only
        .address_space:  global
        .offset:         56
        .size:           8
        .value_kind:     global_buffer
      - .offset:         64
        .size:           4
        .value_kind:     by_value
      - .actual_access:  read_only
        .address_space:  global
        .offset:         72
        .size:           8
        .value_kind:     global_buffer
      - .actual_access:  read_only
        .address_space:  global
        .offset:         80
        .size:           8
        .value_kind:     global_buffer
      - .actual_access:  read_only
        .address_space:  global
        .offset:         88
        .size:           8
        .value_kind:     global_buffer
      - .actual_access:  write_only
        .address_space:  global
        .offset:         96
        .size:           8
        .value_kind:     global_buffer
    .group_segment_fixed_size: 0
    .kernarg_segment_align: 8
    .kernarg_segment_size: 104
    .language:       OpenCL C
    .language_version:
      - 2
      - 0
    .max_flat_workgroup_size: 253
    .name:           fft_rtc_back_len66_factors_6_11_wgs_253_tpt_11_dp_op_CI_CI_unitstride_sbrr_R2C_dirReg
    .private_segment_fixed_size: 0
    .sgpr_count:     36
    .sgpr_spill_count: 0
    .symbol:         fft_rtc_back_len66_factors_6_11_wgs_253_tpt_11_dp_op_CI_CI_unitstride_sbrr_R2C_dirReg.kd
    .uniform_work_group_size: 1
    .uses_dynamic_stack: false
    .vgpr_count:     243
    .vgpr_spill_count: 0
    .wavefront_size: 32
    .workgroup_processor_mode: 1
amdhsa.target:   amdgcn-amd-amdhsa--gfx1030
amdhsa.version:
  - 1
  - 2
...

	.end_amdgpu_metadata
